;; amdgpu-corpus repo=ROCm/rocFFT kind=compiled arch=gfx906 opt=O3
	.text
	.amdgcn_target "amdgcn-amd-amdhsa--gfx906"
	.amdhsa_code_object_version 6
	.protected	fft_rtc_fwd_len17_factors_17_wgs_120_tpt_1_sp_op_CI_CI_sbrc_unaligned ; -- Begin function fft_rtc_fwd_len17_factors_17_wgs_120_tpt_1_sp_op_CI_CI_sbrc_unaligned
	.globl	fft_rtc_fwd_len17_factors_17_wgs_120_tpt_1_sp_op_CI_CI_sbrc_unaligned
	.p2align	8
	.type	fft_rtc_fwd_len17_factors_17_wgs_120_tpt_1_sp_op_CI_CI_sbrc_unaligned,@function
fft_rtc_fwd_len17_factors_17_wgs_120_tpt_1_sp_op_CI_CI_sbrc_unaligned: ; @fft_rtc_fwd_len17_factors_17_wgs_120_tpt_1_sp_op_CI_CI_sbrc_unaligned
; %bb.0:
	s_load_dwordx8 s[8:15], s[4:5], 0x8
	s_load_dwordx4 s[20:23], s[4:5], 0x58
	s_mov_b32 s28, 0
	s_mov_b64 s[30:31], 2
	s_mov_b32 s38, s28
	s_waitcnt lgkmcnt(0)
	s_load_dword s33, s[10:11], 0x8
	s_load_dwordx4 s[24:27], s[12:13], 0x0
	s_load_dwordx4 s[16:19], s[14:15], 0x0
	s_waitcnt lgkmcnt(0)
	s_add_i32 s0, s33, -1
	s_mul_hi_u32 s0, s0, 0x88888889
	s_lshr_b32 s0, s0, 6
	s_add_i32 s7, s0, 1
	v_cvt_f32_u32_e32 v1, s7
	s_sub_i32 s2, 0, s7
	v_cmp_gt_u64_e64 s[0:1], s[8:9], 2
	v_rcp_iflag_f32_e32 v1, v1
	v_mul_f32_e32 v1, 0x4f7ffffe, v1
	v_cvt_u32_f32_e32 v1, v1
	v_readfirstlane_b32 s3, v1
	s_mul_i32 s2, s2, s3
	s_mul_hi_u32 s2, s3, s2
	s_add_i32 s3, s3, s2
	s_mul_hi_u32 s2, s6, s3
	s_mul_i32 s3, s2, s7
	s_sub_i32 s3, s6, s3
	s_add_i32 s4, s2, 1
	s_sub_i32 s5, s3, s7
	s_cmp_ge_u32 s3, s7
	s_cselect_b32 s2, s4, s2
	s_cselect_b32 s3, s5, s3
	s_add_i32 s4, s2, 1
	s_cmp_ge_u32 s3, s7
	s_cselect_b32 s27, s4, s2
	s_and_b64 vcc, exec, s[0:1]
	s_mul_i32 s0, s27, s7
	s_sub_i32 s19, s6, s0
	s_mulk_i32 s19, 0x78
	s_mul_i32 s0, s17, s19
	s_mul_hi_u32 s1, s16, s19
	s_mul_i32 s39, s19, s26
	s_mul_i32 s2, s16, s19
	s_add_i32 s3, s1, s0
	s_cbranch_vccz .LBB0_9
; %bb.1:
	v_mov_b32_e32 v1, s8
	s_mov_b32 s4, 3
	v_mov_b32_e32 v2, s9
.LBB0_2:                                ; =>This Inner Loop Header: Depth=1
	s_lshl_b64 s[30:31], s[30:31], 3
	s_add_u32 s0, s10, s30
	s_addc_u32 s1, s11, s31
	s_load_dwordx2 s[34:35], s[0:1], 0x0
	s_waitcnt lgkmcnt(0)
	s_mov_b32 s29, s35
	s_cmp_lg_u64 s[28:29], 0
	s_cbranch_scc0 .LBB0_7
; %bb.3:                                ;   in Loop: Header=BB0_2 Depth=1
	v_cvt_f32_u32_e32 v3, s34
	v_cvt_f32_u32_e32 v4, s35
	s_sub_u32 s0, 0, s34
	s_subb_u32 s1, 0, s35
	v_mac_f32_e32 v3, 0x4f800000, v4
	v_rcp_f32_e32 v3, v3
	v_mul_f32_e32 v3, 0x5f7ffffc, v3
	v_mul_f32_e32 v4, 0x2f800000, v3
	v_trunc_f32_e32 v4, v4
	v_mac_f32_e32 v3, 0xcf800000, v4
	v_cvt_u32_f32_e32 v4, v4
	v_cvt_u32_f32_e32 v3, v3
	v_readfirstlane_b32 s5, v4
	v_readfirstlane_b32 s29, v3
	s_mul_i32 s36, s0, s5
	s_mul_hi_u32 s40, s0, s29
	s_mul_i32 s37, s1, s29
	s_add_i32 s36, s40, s36
	s_mul_i32 s41, s0, s29
	s_add_i32 s36, s36, s37
	s_mul_hi_u32 s37, s29, s36
	s_mul_i32 s40, s29, s36
	s_mul_hi_u32 s29, s29, s41
	s_add_u32 s29, s29, s40
	s_addc_u32 s37, 0, s37
	s_mul_hi_u32 s42, s5, s41
	s_mul_i32 s41, s5, s41
	s_add_u32 s29, s29, s41
	s_mul_hi_u32 s40, s5, s36
	s_addc_u32 s29, s37, s42
	s_addc_u32 s37, s40, 0
	s_mul_i32 s36, s5, s36
	s_add_u32 s29, s29, s36
	s_addc_u32 s36, 0, s37
	v_add_co_u32_e32 v3, vcc, s29, v3
	s_cmp_lg_u64 vcc, 0
	s_addc_u32 s5, s5, s36
	v_readfirstlane_b32 s36, v3
	s_mul_i32 s29, s0, s5
	s_mul_hi_u32 s37, s0, s36
	s_add_i32 s29, s37, s29
	s_mul_i32 s1, s1, s36
	s_add_i32 s29, s29, s1
	s_mul_i32 s0, s0, s36
	s_mul_hi_u32 s37, s5, s0
	s_mul_i32 s40, s5, s0
	s_mul_i32 s42, s36, s29
	s_mul_hi_u32 s0, s36, s0
	s_mul_hi_u32 s41, s36, s29
	s_add_u32 s0, s0, s42
	s_addc_u32 s36, 0, s41
	s_add_u32 s0, s0, s40
	s_mul_hi_u32 s1, s5, s29
	s_addc_u32 s0, s36, s37
	s_addc_u32 s1, s1, 0
	s_mul_i32 s29, s5, s29
	s_add_u32 s0, s0, s29
	s_addc_u32 s1, 0, s1
	v_add_co_u32_e32 v3, vcc, s0, v3
	s_cmp_lg_u64 vcc, 0
	s_addc_u32 s0, s5, s1
	v_readfirstlane_b32 s5, v3
	s_mul_hi_u32 s1, s27, s0
	s_mul_i32 s0, s27, s0
	s_mul_hi_u32 s5, s27, s5
	s_add_u32 s0, s5, s0
	s_addc_u32 s5, 0, s1
	s_mul_i32 s0, s35, s5
	s_mul_hi_u32 s1, s34, s5
	s_add_i32 s29, s1, s0
	s_mul_i32 s1, s34, s5
	v_mov_b32_e32 v3, s1
	s_sub_i32 s0, 0, s29
	v_sub_co_u32_e32 v3, vcc, s27, v3
	s_cmp_lg_u64 vcc, 0
	s_subb_u32 s36, s0, s35
	v_subrev_co_u32_e64 v4, s[0:1], s34, v3
	s_cmp_lg_u64 s[0:1], 0
	s_subb_u32 s0, s36, 0
	s_cmp_ge_u32 s0, s35
	v_readfirstlane_b32 s36, v4
	s_cselect_b32 s1, -1, 0
	s_cmp_ge_u32 s36, s34
	s_cselect_b32 s36, -1, 0
	s_cmp_eq_u32 s0, s35
	s_cselect_b32 s0, s36, s1
	s_add_u32 s1, s5, 1
	s_addc_u32 s36, 0, 0
	s_add_u32 s37, s5, 2
	s_addc_u32 s40, 0, 0
	s_cmp_lg_u32 s0, 0
	s_cselect_b32 s0, s37, s1
	s_cselect_b32 s1, s40, s36
	s_cmp_lg_u64 vcc, 0
	s_subb_u32 s29, 0, s29
	s_cmp_ge_u32 s29, s35
	v_readfirstlane_b32 s37, v3
	s_cselect_b32 s36, -1, 0
	s_cmp_ge_u32 s37, s34
	s_cselect_b32 s37, -1, 0
	s_cmp_eq_u32 s29, s35
	s_cselect_b32 s29, s37, s36
	s_cmp_lg_u32 s29, 0
	s_cselect_b32 s1, s1, 0
	s_cselect_b32 s0, s0, s5
	s_cbranch_execnz .LBB0_5
.LBB0_4:                                ;   in Loop: Header=BB0_2 Depth=1
	v_cvt_f32_u32_e32 v3, s34
	s_sub_i32 s0, 0, s34
	v_rcp_iflag_f32_e32 v3, v3
	v_mul_f32_e32 v3, 0x4f7ffffe, v3
	v_cvt_u32_f32_e32 v3, v3
	v_readfirstlane_b32 s1, v3
	s_mul_i32 s0, s0, s1
	s_mul_hi_u32 s0, s1, s0
	s_add_i32 s1, s1, s0
	s_mul_hi_u32 s0, s27, s1
	s_mul_i32 s5, s0, s34
	s_sub_i32 s5, s27, s5
	s_add_i32 s1, s0, 1
	s_sub_i32 s29, s5, s34
	s_cmp_ge_u32 s5, s34
	s_cselect_b32 s0, s1, s0
	s_cselect_b32 s5, s29, s5
	s_add_i32 s1, s0, 1
	s_cmp_ge_u32 s5, s34
	s_cselect_b32 s0, s1, s0
	s_mov_b32 s1, s28
.LBB0_5:                                ;   in Loop: Header=BB0_2 Depth=1
	s_mul_i32 s5, s0, s35
	s_mul_hi_u32 s29, s0, s34
	s_add_i32 s5, s29, s5
	s_mul_i32 s1, s1, s34
	s_add_i32 s5, s5, s1
	s_mul_i32 s1, s0, s34
	s_sub_u32 s1, s27, s1
	s_subb_u32 s5, 0, s5
	s_add_u32 s36, s12, s30
	s_addc_u32 s37, s13, s31
	s_load_dwordx2 s[36:37], s[36:37], 0x0
	s_mul_i32 s7, s7, s34
	s_waitcnt lgkmcnt(0)
	s_mul_i32 s27, s36, s5
	s_mul_hi_u32 s29, s36, s1
	s_add_i32 s27, s29, s27
	s_mul_i32 s29, s37, s1
	s_add_i32 s27, s27, s29
	s_mul_i32 s29, s36, s1
	s_add_u32 s39, s29, s39
	s_addc_u32 s38, s27, s38
	s_add_u32 s30, s14, s30
	s_addc_u32 s31, s15, s31
	s_load_dwordx2 s[30:31], s[30:31], 0x0
	s_waitcnt lgkmcnt(0)
	s_mul_i32 s5, s30, s5
	s_mul_hi_u32 s27, s30, s1
	s_add_i32 s5, s27, s5
	s_mul_i32 s27, s31, s1
	s_add_i32 s5, s5, s27
	s_mul_i32 s1, s30, s1
	s_add_u32 s2, s1, s2
	s_addc_u32 s3, s5, s3
	s_mov_b32 s5, s28
	v_cmp_ge_u64_e32 vcc, s[4:5], v[1:2]
	s_mov_b64 s[30:31], s[4:5]
	s_add_i32 s4, s4, 1
	s_cbranch_vccnz .LBB0_8
; %bb.6:                                ;   in Loop: Header=BB0_2 Depth=1
	s_mov_b32 s27, s0
	s_branch .LBB0_2
.LBB0_7:                                ;   in Loop: Header=BB0_2 Depth=1
                                        ; implicit-def: $sgpr0_sgpr1
	s_branch .LBB0_4
.LBB0_8:
	v_cvt_f32_u32_e32 v1, s7
	s_sub_i32 s0, 0, s7
	v_rcp_iflag_f32_e32 v1, v1
	v_mul_f32_e32 v1, 0x4f7ffffe, v1
	v_cvt_u32_f32_e32 v1, v1
	v_readfirstlane_b32 s1, v1
	s_mul_i32 s0, s0, s1
	s_mul_hi_u32 s0, s1, s0
	s_add_i32 s1, s1, s0
	s_mul_hi_u32 s0, s6, s1
	s_mul_i32 s1, s0, s7
	s_sub_i32 s1, s6, s1
	s_add_i32 s4, s0, 1
	s_sub_i32 s5, s1, s7
	s_cmp_ge_u32 s1, s7
	s_cselect_b32 s0, s4, s0
	s_cselect_b32 s1, s5, s1
	s_add_i32 s4, s0, 1
	s_cmp_ge_u32 s1, s7
	s_cselect_b32 s27, s4, s0
.LBB0_9:
	s_lshl_b64 s[0:1], s[8:9], 3
	s_add_u32 s4, s12, s0
	s_addc_u32 s5, s13, s1
	s_load_dwordx2 s[4:5], s[4:5], 0x0
	s_mov_b64 s[8:9], -1
	v_lshl_add_u32 v3, v0, 3, 0
	s_waitcnt lgkmcnt(0)
	s_mul_i32 s5, s5, s27
	s_mul_hi_u32 s6, s4, s27
	s_mul_i32 s4, s4, s27
	s_add_i32 s5, s6, s5
	s_add_u32 s6, s4, s39
	s_addc_u32 s7, s5, s38
	s_add_u32 s0, s14, s0
	s_addc_u32 s1, s15, s1
	s_load_dwordx2 s[0:1], s[0:1], 0x0
	s_add_i32 s4, s19, 0x78
	s_cmp_le_u32 s4, s33
	s_cselect_b64 s[4:5], -1, 0
	s_and_b64 vcc, exec, s[4:5]
	s_cbranch_vccnz .LBB0_13
; %bb.10:
	s_lshl_b64 s[8:9], s[6:7], 3
	s_add_u32 s10, s20, s8
	s_addc_u32 s12, s21, s9
	s_mov_b64 s[8:9], 0
	s_mov_b32 s11, 0xf0f1
	v_mov_b32_e32 v2, 0
	v_mov_b32_e32 v4, s12
	s_movk_i32 s12, 0x7f7
	v_mov_b32_e32 v5, v0
	v_mov_b32_e32 v6, v3
.LBB0_11:                               ; =>This Inner Loop Header: Depth=1
	v_mul_u32_u24_sdwa v1, v5, s11 dst_sel:DWORD dst_unused:UNUSED_PAD src0_sel:WORD_0 src1_sel:DWORD
	v_lshrrev_b32_e32 v1, 20, v1
	v_mul_lo_u16_e32 v7, 17, v1
	v_sub_u16_e32 v11, v5, v7
	v_mul_lo_u32 v1, s26, v1
	v_mad_u64_u32 v[7:8], s[14:15], s24, v11, 0
	v_add_u32_e32 v5, 0x78, v5
	v_lshlrev_b64 v[9:10], 3, v[1:2]
	v_mov_b32_e32 v1, v8
	v_mad_u64_u32 v[11:12], s[14:15], s25, v11, v[1:2]
	v_mov_b32_e32 v8, v11
	v_lshlrev_b64 v[7:8], 3, v[7:8]
	v_add_co_u32_e32 v1, vcc, s10, v7
	v_addc_co_u32_e32 v8, vcc, v4, v8, vcc
	v_add_co_u32_e32 v7, vcc, v1, v9
	v_addc_co_u32_e32 v8, vcc, v8, v10, vcc
	global_load_dwordx2 v[7:8], v[7:8], off
	v_cmp_lt_u32_e32 vcc, s12, v5
	s_or_b64 s[8:9], vcc, s[8:9]
	s_waitcnt vmcnt(0)
	ds_write_b64 v6, v[7:8]
	v_add_u32_e32 v6, 0x3c0, v6
	s_andn2_b64 exec, exec, s[8:9]
	s_cbranch_execnz .LBB0_11
; %bb.12:
	s_or_b64 exec, exec, s[8:9]
	s_mov_b64 s[8:9], 0
.LBB0_13:
	s_and_b64 vcc, exec, s[8:9]
	s_cbranch_vccz .LBB0_15
; %bb.14:
	v_mul_u32_u24_e32 v1, 0xf10, v0
	v_lshrrev_b32_e32 v4, 16, v1
	v_mul_lo_u16_e32 v1, 17, v4
	v_sub_u16_e32 v6, v0, v1
	v_mad_u64_u32 v[1:2], s[8:9], s24, v6, 0
	v_mul_lo_u32 v4, s26, v4
	v_mov_b32_e32 v5, 0
	v_mad_u64_u32 v[6:7], s[8:9], s25, v6, v[2:3]
	v_add_u32_e32 v16, 0x78, v0
	s_lshl_b64 s[6:7], s[6:7], 3
	v_mov_b32_e32 v2, v6
	v_lshlrev_b64 v[6:7], 3, v[4:5]
	v_add_u32_e32 v4, 0xf0, v0
	v_mul_u32_u24_e32 v8, 0xf10, v4
	v_lshrrev_b32_e32 v12, 16, v8
	v_mul_lo_u16_e32 v8, 17, v12
	v_sub_u16_e32 v10, v4, v8
	v_mul_u32_u24_e32 v4, 0xf10, v16
	v_mad_u64_u32 v[8:9], s[8:9], s24, v10, 0
	v_lshrrev_b32_e32 v17, 16, v4
	v_mul_lo_u32 v4, s26, v17
	v_mad_u64_u32 v[9:10], s[8:9], s25, v10, v[9:10]
	s_add_u32 s6, s20, s6
	v_lshlrev_b64 v[10:11], 3, v[4:5]
	v_mul_lo_u32 v4, s26, v12
	v_add_u32_e32 v12, 0x168, v0
	v_mul_u32_u24_e32 v13, 0xf10, v12
	v_lshrrev_b32_e32 v15, 16, v13
	v_mul_lo_u16_e32 v13, 17, v15
	v_sub_u16_e32 v19, v12, v13
	v_mad_u64_u32 v[12:13], s[8:9], s24, v19, 0
	v_lshlrev_b64 v[8:9], 3, v[8:9]
	s_addc_u32 s7, s21, s7
	v_mov_b32_e32 v14, s7
	v_add_co_u32_e32 v20, vcc, s6, v8
	v_addc_co_u32_e32 v21, vcc, v14, v9, vcc
	v_lshlrev_b64 v[8:9], 3, v[4:5]
	v_mov_b32_e32 v4, v13
	v_mad_u64_u32 v[13:14], s[8:9], s25, v19, v[4:5]
	v_mul_lo_u32 v4, s26, v15
	v_add_co_u32_e32 v8, vcc, v20, v8
	v_lshlrev_b64 v[12:13], 3, v[12:13]
	v_addc_co_u32_e32 v9, vcc, v21, v9, vcc
	v_mov_b32_e32 v14, s7
	v_add_co_u32_e32 v15, vcc, s6, v12
	v_addc_co_u32_e32 v14, vcc, v14, v13, vcc
	v_lshlrev_b64 v[12:13], 3, v[4:5]
	v_add_u32_e32 v4, 0x1e0, v0
	v_add_co_u32_e32 v12, vcc, v15, v12
	v_addc_co_u32_e32 v13, vcc, v14, v13, vcc
	v_mul_u32_u24_e32 v14, 0xf10, v4
	v_lshrrev_b32_e32 v19, 16, v14
	v_mul_lo_u16_e32 v14, 17, v19
	v_sub_u16_e32 v4, v4, v14
	v_mad_u64_u32 v[14:15], s[8:9], s24, v4, 0
	v_lshlrev_b64 v[1:2], 3, v[1:2]
	v_mov_b32_e32 v18, s7
	v_add_co_u32_e32 v20, vcc, s6, v1
	v_mov_b32_e32 v1, v15
	v_addc_co_u32_e32 v21, vcc, v18, v2, vcc
	v_mad_u64_u32 v[1:2], s[8:9], s25, v4, v[1:2]
	v_mul_lo_u32 v4, s26, v19
	v_mul_lo_u16_e32 v17, 17, v17
	v_mov_b32_e32 v15, v1
	v_lshlrev_b64 v[1:2], 3, v[14:15]
	v_add_u32_e32 v14, 0x258, v0
	v_mul_u32_u24_e32 v15, 0xf10, v14
	v_lshrrev_b32_e32 v23, 16, v15
	v_mul_lo_u16_e32 v15, 17, v23
	v_sub_u16_e32 v19, v14, v15
	v_mad_u64_u32 v[14:15], s[8:9], s24, v19, 0
	v_add_co_u32_e32 v24, vcc, s6, v1
	v_addc_co_u32_e32 v25, vcc, v18, v2, vcc
	v_lshlrev_b64 v[1:2], 3, v[4:5]
	v_mov_b32_e32 v4, v15
	v_mad_u64_u32 v[18:19], s[8:9], s25, v19, v[4:5]
	v_mul_lo_u32 v4, s26, v23
	v_sub_u16_e32 v22, v16, v17
	v_mov_b32_e32 v15, v18
	v_add_co_u32_e32 v1, vcc, v24, v1
	v_lshlrev_b64 v[14:15], 3, v[14:15]
	v_mad_u64_u32 v[16:17], s[8:9], s24, v22, 0
	v_addc_co_u32_e32 v2, vcc, v25, v2, vcc
	v_mov_b32_e32 v18, s7
	v_add_co_u32_e32 v19, vcc, s6, v14
	v_addc_co_u32_e32 v18, vcc, v18, v15, vcc
	v_lshlrev_b64 v[14:15], 3, v[4:5]
	v_mov_b32_e32 v4, v17
	v_add_co_u32_e32 v14, vcc, v19, v14
	v_addc_co_u32_e32 v15, vcc, v18, v15, vcc
	v_mad_u64_u32 v[17:18], s[8:9], s25, v22, v[4:5]
	v_add_u32_e32 v18, 0x2d0, v0
	v_mul_u32_u24_e32 v19, 0xf10, v18
	v_add_co_u32_e32 v6, vcc, v20, v6
	v_lshrrev_b32_e32 v20, 16, v19
	v_mul_lo_u16_e32 v19, 17, v20
	v_addc_co_u32_e32 v7, vcc, v21, v7, vcc
	v_sub_u16_e32 v21, v18, v19
	v_mad_u64_u32 v[18:19], s[8:9], s24, v21, 0
	v_lshlrev_b64 v[16:17], 3, v[16:17]
	v_mov_b32_e32 v4, s7
	v_add_co_u32_e32 v22, vcc, s6, v16
	v_addc_co_u32_e32 v23, vcc, v4, v17, vcc
	v_mov_b32_e32 v4, v19
	v_mad_u64_u32 v[16:17], s[8:9], s25, v21, v[4:5]
	v_add_co_u32_e32 v10, vcc, v22, v10
	v_mov_b32_e32 v19, v16
	v_lshlrev_b64 v[16:17], 3, v[18:19]
	v_add_u32_e32 v18, 0x348, v0
	v_mul_u32_u24_e32 v19, 0xf10, v18
	v_lshrrev_b32_e32 v21, 16, v19
	v_mul_lo_u16_e32 v19, 17, v21
	v_sub_u16_e32 v22, v18, v19
	v_mul_lo_u32 v4, s26, v20
	v_mad_u64_u32 v[18:19], s[8:9], s24, v22, 0
	v_addc_co_u32_e32 v11, vcc, v23, v11, vcc
	v_mov_b32_e32 v20, s7
	v_add_co_u32_e32 v23, vcc, s6, v16
	v_addc_co_u32_e32 v24, vcc, v20, v17, vcc
	v_lshlrev_b64 v[16:17], 3, v[4:5]
	v_mov_b32_e32 v4, v19
	v_mad_u64_u32 v[19:20], s[8:9], s25, v22, v[4:5]
	v_mul_lo_u32 v4, s26, v21
	v_add_co_u32_e32 v16, vcc, v23, v16
	v_lshlrev_b64 v[18:19], 3, v[18:19]
	v_addc_co_u32_e32 v17, vcc, v24, v17, vcc
	v_mov_b32_e32 v20, s7
	v_add_co_u32_e32 v22, vcc, s6, v18
	v_addc_co_u32_e32 v23, vcc, v20, v19, vcc
	v_lshlrev_b64 v[18:19], 3, v[4:5]
	v_add_u32_e32 v4, 0x3c0, v0
	v_mul_u32_u24_e32 v20, 0xf10, v4
	v_lshrrev_b32_e32 v30, 16, v20
	v_mul_lo_u16_e32 v20, 17, v30
	v_sub_u16_e32 v24, v4, v20
	v_mad_u64_u32 v[20:21], s[8:9], s24, v24, 0
	v_add_co_u32_e32 v18, vcc, v22, v18
	v_mov_b32_e32 v4, v21
	v_mad_u64_u32 v[21:22], s[8:9], s25, v24, v[4:5]
	global_load_dwordx2 v[12:13], v[12:13], off
	v_addc_co_u32_e32 v19, vcc, v23, v19, vcc
	global_load_dwordx2 v[22:23], v[1:2], off
	global_load_dwordx2 v[24:25], v[14:15], off
	global_load_dwordx2 v[26:27], v[16:17], off
	global_load_dwordx2 v[28:29], v[18:19], off
	v_add_u32_e32 v14, 0x438, v0
	v_mul_u32_u24_e32 v15, 0xf10, v14
	v_lshrrev_b32_e32 v17, 16, v15
	v_mul_lo_u16_e32 v15, 17, v17
	v_sub_u16_e32 v18, v14, v15
	v_mul_lo_u32 v4, s26, v30
	v_mad_u64_u32 v[14:15], s[8:9], s24, v18, 0
	v_lshlrev_b64 v[1:2], 3, v[20:21]
	v_mov_b32_e32 v16, s7
	v_add_co_u32_e32 v19, vcc, s6, v1
	v_addc_co_u32_e32 v20, vcc, v16, v2, vcc
	v_lshlrev_b64 v[1:2], 3, v[4:5]
	v_mov_b32_e32 v4, v15
	v_mad_u64_u32 v[15:16], s[8:9], s25, v18, v[4:5]
	v_add_u32_e32 v16, 0x4b0, v0
	v_mul_lo_u32 v4, s26, v17
	v_mul_u32_u24_e32 v17, 0xf10, v16
	v_add_co_u32_e32 v1, vcc, v19, v1
	v_lshrrev_b32_e32 v19, 16, v17
	v_mul_lo_u16_e32 v17, 17, v19
	v_addc_co_u32_e32 v2, vcc, v20, v2, vcc
	v_sub_u16_e32 v20, v16, v17
	v_mad_u64_u32 v[16:17], s[8:9], s24, v20, 0
	v_lshlrev_b64 v[14:15], 3, v[14:15]
	v_mov_b32_e32 v18, s7
	v_add_co_u32_e32 v21, vcc, s6, v14
	v_addc_co_u32_e32 v30, vcc, v18, v15, vcc
	v_lshlrev_b64 v[14:15], 3, v[4:5]
	v_mov_b32_e32 v4, v17
	v_mad_u64_u32 v[17:18], s[8:9], s25, v20, v[4:5]
	v_add_u32_e32 v18, 0x528, v0
	v_mul_lo_u32 v4, s26, v19
	v_mul_u32_u24_e32 v19, 0xf10, v18
	v_add_co_u32_e32 v14, vcc, v21, v14
	v_lshrrev_b32_e32 v21, 16, v19
	v_mul_lo_u16_e32 v19, 17, v21
	v_addc_co_u32_e32 v15, vcc, v30, v15, vcc
	v_sub_u16_e32 v30, v18, v19
	v_mad_u64_u32 v[18:19], s[8:9], s24, v30, 0
	v_lshlrev_b64 v[16:17], 3, v[16:17]
	v_mov_b32_e32 v20, s7
	v_add_co_u32_e32 v31, vcc, s6, v16
	v_addc_co_u32_e32 v32, vcc, v20, v17, vcc
	v_lshlrev_b64 v[16:17], 3, v[4:5]
	v_mov_b32_e32 v4, v19
	v_mad_u64_u32 v[19:20], s[8:9], s25, v30, v[4:5]
	v_add_u32_e32 v20, 0x5a0, v0
	v_add_co_u32_e32 v16, vcc, v31, v16
	v_mul_lo_u32 v4, s26, v21
	v_mul_u32_u24_e32 v21, 0xf10, v20
	v_addc_co_u32_e32 v17, vcc, v32, v17, vcc
	v_lshrrev_b32_e32 v32, 16, v21
	v_mul_lo_u16_e32 v21, 17, v32
	v_sub_u16_e32 v31, v20, v21
	v_mad_u64_u32 v[20:21], s[8:9], s24, v31, 0
	v_lshlrev_b64 v[18:19], 3, v[18:19]
	v_mov_b32_e32 v30, s7
	v_add_co_u32_e32 v33, vcc, s6, v18
	v_addc_co_u32_e32 v34, vcc, v30, v19, vcc
	v_lshlrev_b64 v[18:19], 3, v[4:5]
	v_mov_b32_e32 v4, v21
	v_mad_u64_u32 v[30:31], s[8:9], s25, v31, v[4:5]
	v_add_co_u32_e32 v18, vcc, v33, v18
	v_mov_b32_e32 v21, v30
	v_add_u32_e32 v30, 0x618, v0
	v_mul_u32_u24_e32 v31, 0xf10, v30
	v_lshrrev_b32_e32 v33, 16, v31
	v_mul_lo_u16_e32 v31, 17, v33
	v_addc_co_u32_e32 v19, vcc, v34, v19, vcc
	v_sub_u16_e32 v34, v30, v31
	v_mul_lo_u32 v4, s26, v32
	v_mad_u64_u32 v[30:31], s[8:9], s24, v34, 0
	v_lshlrev_b64 v[20:21], 3, v[20:21]
	v_mov_b32_e32 v32, s7
	v_add_co_u32_e32 v35, vcc, s6, v20
	v_addc_co_u32_e32 v36, vcc, v32, v21, vcc
	v_lshlrev_b64 v[20:21], 3, v[4:5]
	v_mov_b32_e32 v4, v31
	v_mad_u64_u32 v[31:32], s[8:9], s25, v34, v[4:5]
	v_add_u32_e32 v32, 0x690, v0
	v_mul_lo_u32 v4, s26, v33
	v_mul_u32_u24_e32 v33, 0xf10, v32
	v_add_co_u32_e32 v20, vcc, v35, v20
	v_lshrrev_b32_e32 v35, 16, v33
	v_mul_lo_u16_e32 v33, 17, v35
	v_addc_co_u32_e32 v21, vcc, v36, v21, vcc
	v_sub_u16_e32 v36, v32, v33
	v_mad_u64_u32 v[32:33], s[8:9], s24, v36, 0
	v_lshlrev_b64 v[30:31], 3, v[30:31]
	v_mov_b32_e32 v34, s7
	v_add_co_u32_e32 v37, vcc, s6, v30
	v_addc_co_u32_e32 v38, vcc, v34, v31, vcc
	v_lshlrev_b64 v[30:31], 3, v[4:5]
	v_mov_b32_e32 v4, v33
	v_mad_u64_u32 v[33:34], s[8:9], s25, v36, v[4:5]
	v_add_u32_e32 v34, 0x708, v0
	v_mul_lo_u32 v4, s26, v35
	v_mul_u32_u24_e32 v35, 0xf10, v34
	v_add_co_u32_e32 v30, vcc, v37, v30
	v_lshrrev_b32_e32 v37, 16, v35
	v_mul_lo_u16_e32 v35, 17, v37
	v_addc_co_u32_e32 v31, vcc, v38, v31, vcc
	v_sub_u16_e32 v38, v34, v35
	v_mad_u64_u32 v[34:35], s[8:9], s24, v38, 0
	v_lshlrev_b64 v[32:33], 3, v[32:33]
	v_mov_b32_e32 v36, s7
	v_add_co_u32_e32 v39, vcc, s6, v32
	v_addc_co_u32_e32 v40, vcc, v36, v33, vcc
	v_lshlrev_b64 v[32:33], 3, v[4:5]
	v_mov_b32_e32 v4, v35
	v_mad_u64_u32 v[35:36], s[8:9], s25, v38, v[4:5]
	v_or_b32_e32 v36, 0x780, v0
	v_mul_lo_u32 v4, s26, v37
	v_mul_u32_u24_e32 v37, 0xf10, v36
	v_add_co_u32_e32 v32, vcc, v39, v32
	v_lshrrev_b32_e32 v39, 16, v37
	v_mul_lo_u16_e32 v37, 17, v39
	v_addc_co_u32_e32 v33, vcc, v40, v33, vcc
	v_sub_u16_e32 v40, v36, v37
	v_mad_u64_u32 v[36:37], s[8:9], s24, v40, 0
	v_lshlrev_b64 v[34:35], 3, v[34:35]
	v_mov_b32_e32 v38, s7
	v_add_co_u32_e32 v41, vcc, s6, v34
	v_addc_co_u32_e32 v42, vcc, v38, v35, vcc
	v_lshlrev_b64 v[34:35], 3, v[4:5]
	v_mov_b32_e32 v4, v37
	v_mad_u64_u32 v[37:38], s[8:9], s25, v40, v[4:5]
	v_add_co_u32_e32 v34, vcc, v41, v34
	v_lshlrev_b64 v[36:37], 3, v[36:37]
	v_addc_co_u32_e32 v35, vcc, v42, v35, vcc
	v_mul_lo_u32 v4, s26, v39
	v_mov_b32_e32 v38, s7
	v_add_co_u32_e32 v42, vcc, s6, v36
	v_addc_co_u32_e32 v43, vcc, v38, v37, vcc
	global_load_dwordx2 v[36:37], v[6:7], off
	global_load_dwordx2 v[38:39], v[8:9], off
	;; [unrolled: 1-line block ×3, first 2 shown]
	v_lshlrev_b64 v[4:5], 3, v[4:5]
	v_add_co_u32_e32 v4, vcc, v42, v4
	v_addc_co_u32_e32 v5, vcc, v43, v5, vcc
	global_load_dwordx2 v[6:7], v[1:2], off
	global_load_dwordx2 v[8:9], v[14:15], off
	;; [unrolled: 1-line block ×9, first 2 shown]
	v_add_u32_e32 v1, 0x400, v3
	s_waitcnt vmcnt(10)
	ds_write2_b64 v1, v[38:39], v[12:13] offset0:112 offset1:232
	v_add_u32_e32 v1, 0xc00, v3
	ds_write2_b64 v1, v[22:23], v[24:25] offset0:96 offset1:216
	s_waitcnt vmcnt(9)
	ds_write2_b64 v3, v[36:37], v[40:41] offset1:120
	v_add_u32_e32 v1, 0x1400, v3
	ds_write2_b64 v1, v[26:27], v[28:29] offset0:80 offset1:200
	v_add_u32_e32 v1, 0x1c00, v3
	s_waitcnt vmcnt(7)
	ds_write2_b64 v1, v[6:7], v[8:9] offset0:64 offset1:184
	v_add_u32_e32 v1, 0x2400, v3
	s_waitcnt vmcnt(5)
	;; [unrolled: 3-line block ×4, first 2 shown]
	ds_write2_b64 v1, v[48:49], v[50:51] offset0:16 offset1:136
	s_waitcnt vmcnt(0)
	ds_write_b64 v3, v[52:53] offset:15360
.LBB0_15:
	v_add_u32_e32 v1, s19, v0
	s_mov_b32 s6, 0x88888889
	v_mul_hi_u32 v2, v1, s6
	s_movk_i32 s6, 0x78
	s_waitcnt lgkmcnt(0)
	s_barrier
	v_lshrrev_b32_e32 v2, 6, v2
	v_mul_lo_u32 v2, v2, s6
	s_movk_i32 s6, 0x88
	s_mov_b32 s10, 0x3f6eb680
	v_sub_u32_e32 v1, v1, v2
	v_mad_u32_u24 v21, v1, s6, 0
	ds_read2_b64 v[1:4], v21 offset1:1
	ds_read2_b64 v[5:8], v21 offset0:2 offset1:3
	ds_read2_b64 v[9:12], v21 offset0:4 offset1:5
	ds_read2_b64 v[13:16], v21 offset0:6 offset1:7
	s_mov_b32 s8, 0x3f3d2fb0
	s_waitcnt lgkmcnt(3)
	v_add_f32_e32 v17, v1, v3
	v_add_f32_e32 v18, v2, v4
	s_waitcnt lgkmcnt(2)
	v_add_f32_e32 v17, v17, v5
	v_add_f32_e32 v18, v18, v6
	v_add_f32_e32 v17, v17, v7
	v_add_f32_e32 v18, v18, v8
	s_waitcnt lgkmcnt(1)
	v_add_f32_e32 v17, v17, v9
	v_add_f32_e32 v18, v18, v10
	;; [unrolled: 1-line block ×4, first 2 shown]
	s_waitcnt lgkmcnt(0)
	v_add_f32_e32 v23, v17, v13
	ds_read2_b64 v[17:20], v21 offset0:10 offset1:11
	ds_read2_b64 v[48:51], v21 offset0:8 offset1:9
	v_add_f32_e32 v22, v22, v14
	v_add_f32_e32 v28, v23, v15
	;; [unrolled: 1-line block ×3, first 2 shown]
	s_waitcnt lgkmcnt(1)
	v_add_f32_e32 v23, v19, v13
	v_add_f32_e32 v22, v20, v14
	v_sub_f32_e32 v25, v13, v19
	v_sub_f32_e32 v27, v14, v20
	v_add_f32_e32 v14, v17, v15
	v_add_f32_e32 v13, v18, v16
	v_sub_f32_e32 v24, v15, v17
	v_sub_f32_e32 v26, v16, v18
	s_waitcnt lgkmcnt(0)
	v_add_f32_e32 v15, v28, v48
	v_add_f32_e32 v16, v29, v49
	ds_read2_b64 v[28:31], v21 offset0:12 offset1:13
	ds_read2_b64 v[32:35], v21 offset0:14 offset1:15
	v_add_f32_e32 v15, v15, v50
	v_add_f32_e32 v16, v16, v51
	;; [unrolled: 1-line block ×6, first 2 shown]
	s_waitcnt lgkmcnt(1)
	v_add_f32_e32 v16, v30, v9
	v_add_f32_e32 v15, v31, v10
	v_sub_f32_e32 v18, v9, v30
	v_sub_f32_e32 v20, v10, v31
	v_add_f32_e32 v10, v28, v11
	v_add_f32_e32 v9, v29, v12
	v_sub_f32_e32 v17, v11, v28
	v_sub_f32_e32 v19, v12, v29
	v_add_f32_e32 v11, v36, v28
	v_add_f32_e32 v12, v37, v29
	ds_read_b64 v[36:37], v21 offset:128
	v_add_f32_e32 v31, v12, v31
	v_add_f32_e32 v30, v11, v30
	s_waitcnt lgkmcnt(1)
	v_add_f32_e32 v31, v31, v33
	v_add_f32_e32 v11, v35, v6
	v_sub_f32_e32 v29, v6, v35
	v_add_f32_e32 v30, v30, v32
	v_add_f32_e32 v35, v31, v35
	s_waitcnt lgkmcnt(0)
	v_sub_f32_e32 v31, v4, v37
	v_add_f32_e32 v12, v34, v5
	v_sub_f32_e32 v28, v5, v34
	v_add_f32_e32 v6, v32, v7
	;; [unrolled: 2-line block ×3, first 2 shown]
	v_add_f32_e32 v30, v36, v3
	v_mul_f32_e32 v32, 0xbeb8f4ab, v31
	v_mul_f32_e32 v38, 0xbf2c7751, v31
	s_mov_b32 s7, 0x3ee437d1
	v_mul_f32_e32 v40, 0xbf65296c, v31
	s_mov_b32 s6, 0x3dbcf732
	;; [unrolled: 2-line block ×5, first 2 shown]
	v_mul_f32_e32 v54, 0xbf06c442, v31
	v_mul_f32_e32 v56, 0xbe3c28d5, v31
	s_mov_b32 s13, 0xbf7ba420
	v_sub_f32_e32 v3, v3, v36
	v_add_f32_e32 v5, v33, v8
	v_sub_f32_e32 v8, v8, v33
	v_fma_f32 v33, v30, s10, -v32
	v_fmac_f32_e32 v32, 0x3f6eb680, v30
	v_fma_f32 v39, v30, s8, -v38
	v_fmac_f32_e32 v38, 0x3f3d2fb0, v30
	;; [unrolled: 2-line block ×8, first 2 shown]
	v_add_f32_e32 v4, v37, v4
	v_mul_f32_e32 v30, 0xbeb8f4ab, v3
	v_mul_f32_e32 v47, 0xbf2c7751, v3
	;; [unrolled: 1-line block ×8, first 2 shown]
	v_mov_b32_e32 v46, v30
	v_mov_b32_e32 v57, v47
	v_fma_f32 v47, v4, s8, -v47
	v_mov_b32_e32 v59, v58
	v_mov_b32_e32 v61, v60
	;; [unrolled: 1-line block ×6, first 2 shown]
	v_fmac_f32_e32 v46, 0x3f6eb680, v4
	v_fma_f32 v30, v4, s10, -v30
	v_fmac_f32_e32 v57, 0x3f3d2fb0, v4
	v_fmac_f32_e32 v59, 0x3ee437d1, v4
	v_fma_f32 v58, v4, s7, -v58
	v_fmac_f32_e32 v61, 0x3dbcf732, v4
	v_fma_f32 v60, v4, s6, -v60
	;; [unrolled: 2-line block ×6, first 2 shown]
	v_add_f32_e32 v69, v1, v33
	v_add_f32_e32 v71, v1, v32
	;; [unrolled: 1-line block ×19, first 2 shown]
	v_sub_f32_e32 v36, v48, v50
	v_mul_f32_e32 v50, 0xbf2c7751, v29
	v_fma_f32 v48, v12, s8, -v50
	v_mul_f32_e32 v52, 0xbf65296c, v8
	v_add_f32_e32 v70, v2, v46
	v_add_f32_e32 v72, v2, v30
	;; [unrolled: 1-line block ×17, first 2 shown]
	v_sub_f32_e32 v37, v49, v51
	v_add_f32_e32 v48, v48, v69
	v_mul_f32_e32 v51, 0xbf2c7751, v28
	v_fma_f32 v53, v6, s7, -v52
	v_mov_b32_e32 v49, v51
	v_add_f32_e32 v48, v53, v48
	v_mul_f32_e32 v53, 0xbf65296c, v7
	v_fmac_f32_e32 v49, 0x3f3d2fb0, v11
	v_mov_b32_e32 v54, v53
	v_add_f32_e32 v49, v49, v70
	v_fmac_f32_e32 v54, 0x3ee437d1, v5
	v_add_f32_e32 v49, v54, v49
	v_mul_f32_e32 v54, 0xbf7ee86f, v20
	v_fma_f32 v55, v16, s6, -v54
	v_add_f32_e32 v48, v55, v48
	v_mul_f32_e32 v55, 0xbf7ee86f, v18
	v_mov_b32_e32 v56, v55
	v_fmac_f32_e32 v56, 0x3dbcf732, v15
	v_add_f32_e32 v49, v56, v49
	v_mul_f32_e32 v56, 0xbf763a35, v19
	v_fma_f32 v62, v10, s9, -v56
	v_add_f32_e32 v48, v62, v48
	v_mul_f32_e32 v62, 0xbf763a35, v17
	v_mov_b32_e32 v63, v62
	;; [unrolled: 7-line block ×5, first 2 shown]
	v_fmac_f32_e32 v69, 0xbf7ba420, v35
	v_add_f32_e32 v49, v69, v49
	s_barrier
	ds_write2_b64 v21, v[1:2], v[48:49] offset1:1
	v_fma_f32 v2, v11, s8, -v51
	v_add_f32_e32 v2, v2, v72
	v_fma_f32 v48, v5, s7, -v53
	v_add_f32_e32 v2, v48, v2
	;; [unrolled: 2-line block ×4, first 2 shown]
	v_fma_f32 v48, v22, s11, -v64
	v_fmac_f32_e32 v50, 0x3f3d2fb0, v12
	v_add_f32_e32 v2, v48, v2
	v_fma_f32 v48, v13, s12, -v66
	v_add_f32_e32 v1, v50, v71
	v_fmac_f32_e32 v52, 0x3ee437d1, v6
	v_add_f32_e32 v2, v48, v2
	v_fma_f32 v48, v35, s13, -v68
	v_mul_f32_e32 v50, 0xbf7ee86f, v29
	v_add_f32_e32 v1, v52, v1
	v_add_f32_e32 v2, v48, v2
	v_fma_f32 v48, v12, s6, -v50
	v_mul_f32_e32 v52, 0xbf4c4adb, v8
	v_add_f32_e32 v48, v48, v73
	v_mul_f32_e32 v51, 0xbf7ee86f, v28
	v_fma_f32 v53, v6, s11, -v52
	v_fmac_f32_e32 v54, 0x3dbcf732, v16
	v_mov_b32_e32 v49, v51
	v_add_f32_e32 v48, v53, v48
	v_mul_f32_e32 v53, 0xbf4c4adb, v7
	v_add_f32_e32 v1, v54, v1
	v_fmac_f32_e32 v49, 0x3dbcf732, v11
	v_mov_b32_e32 v54, v53
	v_add_f32_e32 v49, v49, v57
	v_fmac_f32_e32 v54, 0xbf1a4643, v5
	v_add_f32_e32 v49, v54, v49
	v_mul_f32_e32 v54, 0xbe3c28d5, v20
	v_fma_f32 v55, v16, s13, -v54
	v_fmac_f32_e32 v56, 0xbe8c1d8e, v10
	v_add_f32_e32 v48, v55, v48
	v_mul_f32_e32 v55, 0xbe3c28d5, v18
	v_add_f32_e32 v1, v56, v1
	v_mov_b32_e32 v56, v55
	v_fmac_f32_e32 v56, 0xbf7ba420, v15
	v_add_f32_e32 v49, v56, v49
	v_mul_f32_e32 v56, 0x3f06c442, v19
	v_fma_f32 v57, v10, s12, -v56
	v_add_f32_e32 v48, v57, v48
	v_mul_f32_e32 v57, 0x3f06c442, v17
	v_mov_b32_e32 v62, v57
	v_fmac_f32_e32 v62, 0xbf59a7d5, v9
	v_fmac_f32_e32 v63, 0xbf1a4643, v23
	v_add_f32_e32 v49, v62, v49
	v_mul_f32_e32 v62, 0x3f763a35, v27
	v_add_f32_e32 v1, v63, v1
	v_fma_f32 v63, v23, s9, -v62
	v_add_f32_e32 v48, v63, v48
	v_mul_f32_e32 v63, 0x3f763a35, v25
	v_mov_b32_e32 v64, v63
	v_fmac_f32_e32 v64, 0xbe8c1d8e, v22
	v_fmac_f32_e32 v65, 0xbf59a7d5, v14
	v_add_f32_e32 v49, v64, v49
	v_mul_f32_e32 v64, 0x3f65296c, v26
	v_add_f32_e32 v1, v65, v1
	v_fma_f32 v65, v14, s7, -v64
	v_fmac_f32_e32 v50, 0x3dbcf732, v12
	v_add_f32_e32 v48, v65, v48
	v_mul_f32_e32 v65, 0x3f65296c, v24
	v_add_f32_e32 v50, v50, v74
	v_fma_f32 v51, v11, s6, -v51
	v_fmac_f32_e32 v52, 0xbf1a4643, v6
	v_mov_b32_e32 v66, v65
	v_add_f32_e32 v51, v51, v75
	v_add_f32_e32 v50, v52, v50
	v_fma_f32 v52, v5, s11, -v53
	v_fmac_f32_e32 v66, 0x3ee437d1, v13
	v_add_f32_e32 v51, v52, v51
	v_fma_f32 v52, v15, s13, -v55
	v_fmac_f32_e32 v67, 0xbf7ba420, v34
	v_add_f32_e32 v49, v66, v49
	v_mul_f32_e32 v66, 0x3eb8f4ab, v37
	v_add_f32_e32 v51, v52, v51
	v_fma_f32 v52, v9, s12, -v57
	v_add_f32_e32 v1, v67, v1
	v_fma_f32 v67, v34, s10, -v66
	;; [unrolled: 2-line block ×3, first 2 shown]
	v_add_f32_e32 v48, v67, v48
	v_mul_f32_e32 v67, 0x3eb8f4ab, v36
	v_fmac_f32_e32 v54, 0xbf7ba420, v16
	v_add_f32_e32 v51, v52, v51
	v_fma_f32 v52, v13, s7, -v65
	v_add_f32_e32 v50, v54, v50
	v_fmac_f32_e32 v56, 0xbf59a7d5, v10
	v_add_f32_e32 v51, v52, v51
	v_fma_f32 v52, v35, s10, -v67
	v_mul_f32_e32 v54, 0xbf4c4adb, v29
	v_add_f32_e32 v50, v56, v50
	v_add_f32_e32 v51, v52, v51
	v_fma_f32 v52, v12, s11, -v54
	v_mul_f32_e32 v55, 0xbf4c4adb, v28
	v_mul_f32_e32 v56, 0x3e3c28d5, v8
	v_add_f32_e32 v52, v52, v76
	v_mov_b32_e32 v53, v55
	v_fma_f32 v57, v6, s13, -v56
	v_fmac_f32_e32 v53, 0xbf1a4643, v11
	v_add_f32_e32 v52, v57, v52
	v_mul_f32_e32 v57, 0x3e3c28d5, v7
	v_add_f32_e32 v53, v53, v59
	v_mov_b32_e32 v59, v57
	v_fmac_f32_e32 v59, 0xbf7ba420, v5
	v_fmac_f32_e32 v62, 0xbe8c1d8e, v23
	v_add_f32_e32 v53, v59, v53
	v_mul_f32_e32 v59, 0x3f763a35, v20
	v_add_f32_e32 v50, v62, v50
	v_fma_f32 v62, v16, s9, -v59
	v_add_f32_e32 v52, v62, v52
	v_mul_f32_e32 v62, 0x3f763a35, v18
	v_mov_b32_e32 v63, v62
	v_fmac_f32_e32 v63, 0xbe8c1d8e, v15
	v_fmac_f32_e32 v64, 0x3ee437d1, v14
	v_add_f32_e32 v53, v63, v53
	v_mul_f32_e32 v63, 0x3f2c7751, v19
	v_add_f32_e32 v50, v64, v50
	v_fma_f32 v64, v10, s8, -v63
	v_add_f32_e32 v52, v64, v52
	v_mul_f32_e32 v64, 0x3f2c7751, v17
	v_mov_b32_e32 v65, v64
	v_fmac_f32_e32 v65, 0x3f3d2fb0, v9
	v_fmac_f32_e32 v66, 0x3f6eb680, v34
	v_add_f32_e32 v53, v65, v53
	v_mul_f32_e32 v65, 0xbeb8f4ab, v27
	v_add_f32_e32 v50, v66, v50
	v_fma_f32 v66, v23, s10, -v65
	v_add_f32_e32 v52, v66, v52
	v_mul_f32_e32 v66, 0xbeb8f4ab, v25
	v_mov_b32_e32 v68, v67
	v_mov_b32_e32 v67, v66
	v_fmac_f32_e32 v67, 0x3f6eb680, v22
	v_fmac_f32_e32 v68, 0x3f6eb680, v35
	v_add_f32_e32 v53, v67, v53
	v_mul_f32_e32 v67, 0xbf7ee86f, v26
	v_add_f32_e32 v49, v68, v49
	v_fma_f32 v68, v14, s6, -v67
	v_fmac_f32_e32 v54, 0xbf1a4643, v12
	v_add_f32_e32 v52, v68, v52
	v_mul_f32_e32 v68, 0xbf7ee86f, v24
	v_add_f32_e32 v54, v54, v77
	v_fma_f32 v55, v11, s11, -v55
	v_fmac_f32_e32 v56, 0xbf7ba420, v6
	v_mov_b32_e32 v69, v68
	v_add_f32_e32 v55, v55, v58
	v_add_f32_e32 v54, v56, v54
	v_fma_f32 v56, v5, s13, -v57
	v_fmac_f32_e32 v69, 0x3dbcf732, v13
	v_add_f32_e32 v55, v56, v55
	v_fma_f32 v56, v15, s9, -v62
	v_add_f32_e32 v53, v69, v53
	v_mul_f32_e32 v69, 0xbf06c442, v37
	v_fmac_f32_e32 v59, 0xbe8c1d8e, v16
	v_add_f32_e32 v55, v56, v55
	v_fma_f32 v56, v9, s8, -v64
	v_fma_f32 v70, v34, s12, -v69
	v_add_f32_e32 v54, v59, v54
	v_add_f32_e32 v55, v56, v55
	v_fma_f32 v56, v22, s10, -v66
	v_mul_f32_e32 v59, 0xbe3c28d5, v28
	v_add_f32_e32 v52, v70, v52
	v_mul_f32_e32 v70, 0xbf06c442, v36
	v_add_f32_e32 v55, v56, v55
	v_fma_f32 v56, v13, s6, -v68
	v_mov_b32_e32 v57, v59
	v_add_f32_e32 v55, v56, v55
	v_fma_f32 v56, v35, s12, -v70
	v_mul_f32_e32 v58, 0xbe3c28d5, v29
	v_fmac_f32_e32 v57, 0xbf7ba420, v11
	v_add_f32_e32 v55, v56, v55
	v_fma_f32 v56, v12, s13, -v58
	v_add_f32_e32 v57, v57, v61
	v_mul_f32_e32 v61, 0x3f763a35, v8
	v_add_f32_e32 v56, v56, v78
	v_fma_f32 v62, v6, s9, -v61
	v_fmac_f32_e32 v63, 0x3f3d2fb0, v10
	v_add_f32_e32 v56, v62, v56
	v_mul_f32_e32 v62, 0x3f763a35, v7
	v_add_f32_e32 v54, v63, v54
	v_mov_b32_e32 v63, v62
	v_fmac_f32_e32 v63, 0xbe8c1d8e, v5
	v_add_f32_e32 v57, v63, v57
	v_mul_f32_e32 v63, 0x3eb8f4ab, v20
	v_fma_f32 v64, v16, s10, -v63
	v_fmac_f32_e32 v65, 0x3f6eb680, v23
	v_add_f32_e32 v56, v64, v56
	v_mul_f32_e32 v64, 0x3eb8f4ab, v18
	v_add_f32_e32 v54, v65, v54
	v_mov_b32_e32 v65, v64
	v_fmac_f32_e32 v65, 0x3f6eb680, v15
	v_add_f32_e32 v57, v65, v57
	v_mul_f32_e32 v65, 0xbf65296c, v19
	;; [unrolled: 9-line block ×4, first 2 shown]
	v_mov_b32_e32 v71, v70
	v_fma_f32 v70, v14, s11, -v69
	v_fmac_f32_e32 v71, 0xbf59a7d5, v35
	v_add_f32_e32 v56, v70, v56
	v_mul_f32_e32 v70, 0x3f4c4adb, v24
	v_fma_f32 v59, v11, s13, -v59
	v_add_f32_e32 v53, v71, v53
	v_mov_b32_e32 v71, v70
	v_add_f32_e32 v59, v59, v60
	v_fma_f32 v60, v5, s9, -v62
	v_fmac_f32_e32 v71, 0xbf1a4643, v13
	v_add_f32_e32 v59, v60, v59
	v_fma_f32 v60, v15, s10, -v64
	v_add_f32_e32 v57, v71, v57
	v_mul_f32_e32 v71, 0x3f2c7751, v37
	v_add_f32_e32 v59, v60, v59
	v_fma_f32 v60, v9, s7, -v66
	v_fma_f32 v72, v34, s8, -v71
	v_add_f32_e32 v59, v60, v59
	v_fma_f32 v60, v22, s12, -v68
	v_add_f32_e32 v56, v72, v56
	v_mul_f32_e32 v72, 0x3f2c7751, v36
	v_add_f32_e32 v59, v60, v59
	v_fma_f32 v60, v13, s11, -v70
	v_fmac_f32_e32 v58, 0xbf7ba420, v12
	v_add_f32_e32 v59, v60, v59
	v_fma_f32 v60, v35, s8, -v72
	v_add_f32_e32 v58, v58, v79
	v_fmac_f32_e32 v61, 0xbe8c1d8e, v6
	v_add_f32_e32 v59, v60, v59
	v_mul_f32_e32 v60, 0x3f06c442, v29
	v_add_f32_e32 v58, v61, v58
	v_fma_f32 v61, v12, s12, -v60
	v_add_f32_e32 v47, v61, v47
	v_mul_f32_e32 v61, 0x3f06c442, v28
	v_mov_b32_e32 v62, v61
	v_fmac_f32_e32 v62, 0xbf59a7d5, v11
	v_fmac_f32_e32 v63, 0x3f6eb680, v16
	v_add_f32_e32 v46, v62, v46
	v_mul_f32_e32 v62, 0x3f2c7751, v8
	v_add_f32_e32 v58, v63, v58
	v_fma_f32 v63, v6, s8, -v62
	v_add_f32_e32 v47, v63, v47
	v_mul_f32_e32 v63, 0x3f2c7751, v7
	v_mov_b32_e32 v64, v63
	v_fmac_f32_e32 v64, 0x3f3d2fb0, v5
	;; [unrolled: 9-line block ×5, first 2 shown]
	v_fmac_f32_e32 v60, 0xbf59a7d5, v12
	v_fmac_f32_e32 v71, 0x3f3d2fb0, v34
	v_add_f32_e32 v46, v70, v46
	v_mul_f32_e32 v70, 0xbeb8f4ab, v26
	v_add_f32_e32 v45, v60, v45
	v_fma_f32 v60, v11, s12, -v61
	v_fmac_f32_e32 v62, 0x3f3d2fb0, v6
	v_add_f32_e32 v58, v71, v58
	v_fma_f32 v71, v14, s10, -v70
	v_add_f32_e32 v44, v60, v44
	v_add_f32_e32 v45, v62, v45
	v_fma_f32 v60, v5, s8, -v63
	v_fmac_f32_e32 v64, 0x3ee437d1, v16
	v_mov_b32_e32 v73, v72
	v_add_f32_e32 v47, v71, v47
	v_mul_f32_e32 v71, 0xbeb8f4ab, v24
	v_add_f32_e32 v44, v60, v44
	v_add_f32_e32 v45, v64, v45
	v_fma_f32 v60, v15, s7, -v65
	v_fmac_f32_e32 v66, 0xbf7ba420, v10
	v_fmac_f32_e32 v73, 0x3f3d2fb0, v35
	v_mov_b32_e32 v72, v71
	v_add_f32_e32 v44, v60, v44
	v_add_f32_e32 v45, v66, v45
	v_fma_f32 v60, v9, s13, -v67
	v_fmac_f32_e32 v68, 0x3dbcf732, v23
	v_add_f32_e32 v57, v73, v57
	v_fmac_f32_e32 v72, 0x3f6eb680, v13
	v_mul_f32_e32 v73, 0xbf4c4adb, v37
	v_add_f32_e32 v44, v60, v44
	v_add_f32_e32 v45, v68, v45
	v_fma_f32 v60, v22, s6, -v69
	v_fmac_f32_e32 v70, 0x3f6eb680, v14
	v_add_f32_e32 v72, v72, v46
	v_fma_f32 v46, v34, s11, -v73
	v_mul_f32_e32 v74, 0xbf4c4adb, v36
	v_add_f32_e32 v44, v60, v44
	v_add_f32_e32 v45, v70, v45
	v_fma_f32 v60, v13, s10, -v71
	v_fmac_f32_e32 v73, 0xbf1a4643, v34
	v_add_f32_e32 v60, v60, v44
	v_add_f32_e32 v44, v73, v45
	v_fma_f32 v45, v35, s11, -v74
	v_add_f32_e32 v45, v45, v60
	v_mul_f32_e32 v60, 0x3f763a35, v29
	v_fma_f32 v61, v12, s9, -v60
	v_add_f32_e32 v43, v61, v43
	v_mul_f32_e32 v61, 0x3f763a35, v28
	v_mov_b32_e32 v62, v61
	v_fmac_f32_e32 v62, 0xbe8c1d8e, v11
	v_add_f32_e32 v42, v62, v42
	v_mul_f32_e32 v62, 0xbeb8f4ab, v8
	v_fma_f32 v63, v6, s10, -v62
	v_add_f32_e32 v43, v63, v43
	v_mul_f32_e32 v63, 0xbeb8f4ab, v7
	v_mov_b32_e32 v64, v63
	v_fmac_f32_e32 v64, 0x3f6eb680, v5
	;; [unrolled: 7-line block ×5, first 2 shown]
	v_fmac_f32_e32 v60, 0xbe8c1d8e, v12
	v_add_f32_e32 v42, v70, v42
	v_mul_f32_e32 v70, 0xbe3c28d5, v26
	v_add_f32_e32 v41, v60, v41
	v_fma_f32 v60, v11, s9, -v61
	v_fmac_f32_e32 v62, 0x3f6eb680, v6
	v_add_f32_e32 v46, v46, v47
	v_mov_b32_e32 v47, v74
	v_fma_f32 v71, v14, s13, -v70
	v_add_f32_e32 v40, v60, v40
	v_add_f32_e32 v41, v62, v41
	v_fma_f32 v60, v5, s10, -v63
	v_fmac_f32_e32 v64, 0xbf59a7d5, v16
	v_fmac_f32_e32 v47, 0xbf1a4643, v35
	v_add_f32_e32 v43, v71, v43
	v_mul_f32_e32 v71, 0xbe3c28d5, v24
	v_add_f32_e32 v40, v60, v40
	v_add_f32_e32 v41, v64, v41
	v_fma_f32 v60, v15, s12, -v65
	v_fmac_f32_e32 v66, 0x3dbcf732, v10
	v_add_f32_e32 v47, v47, v72
	v_mov_b32_e32 v72, v71
	v_add_f32_e32 v40, v60, v40
	v_add_f32_e32 v41, v66, v41
	v_fma_f32 v60, v9, s6, -v67
	v_fmac_f32_e32 v68, 0x3f3d2fb0, v23
	v_fmac_f32_e32 v72, 0xbf7ba420, v13
	v_mul_f32_e32 v73, 0x3f65296c, v37
	v_add_f32_e32 v40, v60, v40
	v_add_f32_e32 v41, v68, v41
	v_fma_f32 v60, v22, s8, -v69
	v_fmac_f32_e32 v70, 0xbf7ba420, v14
	v_add_f32_e32 v72, v72, v42
	v_fma_f32 v42, v34, s7, -v73
	v_mul_f32_e32 v74, 0x3f65296c, v36
	v_add_f32_e32 v40, v60, v40
	v_add_f32_e32 v41, v70, v41
	v_fma_f32 v60, v13, s13, -v71
	v_fmac_f32_e32 v73, 0x3ee437d1, v34
	v_add_f32_e32 v60, v60, v40
	v_add_f32_e32 v40, v73, v41
	v_fma_f32 v41, v35, s7, -v74
	v_add_f32_e32 v41, v41, v60
	v_mul_f32_e32 v60, 0x3f65296c, v29
	v_fma_f32 v61, v12, s7, -v60
	v_add_f32_e32 v39, v61, v39
	v_mul_f32_e32 v61, 0x3f65296c, v28
	v_mov_b32_e32 v62, v61
	v_fmac_f32_e32 v62, 0x3ee437d1, v11
	v_add_f32_e32 v38, v62, v38
	v_mul_f32_e32 v62, 0xbf7ee86f, v8
	v_fma_f32 v63, v6, s6, -v62
	v_add_f32_e32 v39, v63, v39
	v_mul_f32_e32 v63, 0xbf7ee86f, v7
	v_mov_b32_e32 v64, v63
	v_fmac_f32_e32 v64, 0x3dbcf732, v5
	;; [unrolled: 7-line block ×5, first 2 shown]
	v_fmac_f32_e32 v60, 0x3ee437d1, v12
	v_add_f32_e32 v38, v70, v38
	v_mul_f32_e32 v70, 0x3f2c7751, v26
	v_add_f32_e32 v33, v60, v33
	v_fma_f32 v60, v11, s7, -v61
	v_fmac_f32_e32 v62, 0x3dbcf732, v6
	v_add_f32_e32 v42, v42, v43
	v_mov_b32_e32 v43, v74
	v_fma_f32 v71, v14, s8, -v70
	v_add_f32_e32 v32, v60, v32
	v_add_f32_e32 v33, v62, v33
	v_fma_f32 v60, v5, s6, -v63
	v_fmac_f32_e32 v64, 0xbf1a4643, v16
	v_fmac_f32_e32 v43, 0x3ee437d1, v35
	v_add_f32_e32 v39, v71, v39
	v_mul_f32_e32 v71, 0x3f2c7751, v24
	v_add_f32_e32 v32, v60, v32
	v_add_f32_e32 v33, v64, v33
	v_fma_f32 v60, v15, s11, -v65
	v_fmac_f32_e32 v66, 0x3f6eb680, v10
	v_add_f32_e32 v43, v43, v72
	v_mov_b32_e32 v72, v71
	v_add_f32_e32 v32, v60, v32
	v_add_f32_e32 v33, v66, v33
	v_fma_f32 v60, v9, s10, -v67
	v_fmac_f32_e32 v68, 0xbf7ba420, v23
	v_fmac_f32_e32 v72, 0x3f3d2fb0, v13
	v_mul_f32_e32 v73, 0xbf763a35, v37
	v_add_f32_e32 v32, v60, v32
	v_add_f32_e32 v33, v68, v33
	v_fma_f32 v60, v22, s13, -v69
	v_fmac_f32_e32 v70, 0x3f3d2fb0, v14
	v_add_f32_e32 v72, v72, v38
	v_fma_f32 v38, v34, s9, -v73
	v_mul_f32_e32 v74, 0xbf763a35, v36
	v_add_f32_e32 v32, v60, v32
	v_add_f32_e32 v33, v70, v33
	v_fma_f32 v60, v13, s8, -v71
	v_fmac_f32_e32 v73, 0xbe8c1d8e, v34
	v_add_f32_e32 v60, v60, v32
	v_add_f32_e32 v32, v73, v33
	v_fma_f32 v33, v35, s9, -v74
	v_mul_f32_e32 v29, 0x3eb8f4ab, v29
	v_add_f32_e32 v33, v33, v60
	v_fma_f32 v60, v12, s10, -v29
	v_mul_f32_e32 v28, 0x3eb8f4ab, v28
	v_add_f32_e32 v31, v60, v31
	v_mov_b32_e32 v60, v28
	v_fmac_f32_e32 v60, 0x3f6eb680, v11
	v_add_f32_e32 v30, v60, v30
	v_mul_f32_e32 v60, 0xbf06c442, v8
	v_fma_f32 v8, v6, s12, -v60
	v_add_f32_e32 v8, v8, v31
	v_mul_f32_e32 v31, 0xbf06c442, v7
	v_mov_b32_e32 v7, v31
	v_fmac_f32_e32 v7, 0xbf59a7d5, v5
	v_mul_f32_e32 v20, 0x3f2c7751, v20
	v_add_f32_e32 v7, v7, v30
	v_fma_f32 v30, v16, s8, -v20
	v_mul_f32_e32 v18, 0x3f2c7751, v18
	v_add_f32_e32 v8, v30, v8
	v_mov_b32_e32 v30, v18
	v_fmac_f32_e32 v30, 0x3f3d2fb0, v15
	v_mul_f32_e32 v19, 0xbf4c4adb, v19
	v_add_f32_e32 v7, v30, v7
	v_fma_f32 v30, v10, s11, -v19
	v_mul_f32_e32 v17, 0xbf4c4adb, v17
	v_add_f32_e32 v8, v30, v8
	v_mov_b32_e32 v30, v17
	v_fmac_f32_e32 v30, 0xbf1a4643, v9
	v_mul_f32_e32 v27, 0x3f65296c, v27
	v_add_f32_e32 v7, v30, v7
	v_fma_f32 v30, v23, s7, -v27
	v_mul_f32_e32 v25, 0x3f65296c, v25
	v_add_f32_e32 v8, v30, v8
	v_mov_b32_e32 v30, v25
	v_fmac_f32_e32 v30, 0x3ee437d1, v22
	v_mul_f32_e32 v26, 0xbf763a35, v26
	v_fmac_f32_e32 v29, 0x3f6eb680, v12
	v_fma_f32 v11, v11, s10, -v28
	v_add_f32_e32 v7, v30, v7
	v_fma_f32 v30, v14, s9, -v26
	v_mul_f32_e32 v24, 0xbf763a35, v24
	v_add_f32_e32 v4, v29, v4
	v_add_f32_e32 v3, v11, v3
	v_fmac_f32_e32 v60, 0xbf59a7d5, v6
	v_fma_f32 v5, v5, s12, -v31
	v_add_f32_e32 v8, v30, v8
	v_mov_b32_e32 v30, v24
	v_add_f32_e32 v4, v60, v4
	v_add_f32_e32 v3, v5, v3
	v_fmac_f32_e32 v20, 0x3f3d2fb0, v16
	v_fma_f32 v5, v15, s8, -v18
	v_fmac_f32_e32 v30, 0xbe8c1d8e, v13
	v_mul_f32_e32 v37, 0x3f7ee86f, v37
	v_add_f32_e32 v4, v20, v4
	v_add_f32_e32 v3, v5, v3
	v_fmac_f32_e32 v19, 0xbf1a4643, v10
	v_fma_f32 v5, v9, s11, -v17
	v_add_f32_e32 v30, v30, v7
	v_fma_f32 v7, v34, s6, -v37
	v_mul_f32_e32 v36, 0x3f7ee86f, v36
	v_add_f32_e32 v4, v19, v4
	v_add_f32_e32 v3, v5, v3
	v_fmac_f32_e32 v27, 0x3ee437d1, v23
	v_fma_f32 v5, v22, s7, -v25
	v_add_f32_e32 v38, v38, v39
	v_mov_b32_e32 v39, v74
	v_add_f32_e32 v7, v7, v8
	v_mov_b32_e32 v8, v36
	v_add_f32_e32 v4, v27, v4
	v_add_f32_e32 v3, v5, v3
	v_fmac_f32_e32 v26, 0xbe8c1d8e, v14
	v_fma_f32 v5, v13, s9, -v24
	v_fmac_f32_e32 v39, 0xbe8c1d8e, v35
	v_fmac_f32_e32 v8, 0x3dbcf732, v35
	v_add_f32_e32 v4, v26, v4
	v_add_f32_e32 v5, v5, v3
	v_fmac_f32_e32 v37, 0x3dbcf732, v34
	v_fma_f32 v6, v35, s6, -v36
	s_mov_b32 s6, 0x2222223
	v_add_f32_e32 v39, v39, v72
	v_add_f32_e32 v8, v8, v30
	;; [unrolled: 1-line block ×4, first 2 shown]
	ds_write2_b64 v21, v[48:49], v[52:53] offset0:2 offset1:3
	ds_write2_b64 v21, v[56:57], v[46:47] offset0:4 offset1:5
	ds_write2_b64 v21, v[42:43], v[38:39] offset0:6 offset1:7
	ds_write2_b64 v21, v[7:8], v[3:4] offset0:8 offset1:9
	ds_write2_b64 v21, v[32:33], v[40:41] offset0:10 offset1:11
	ds_write2_b64 v21, v[44:45], v[58:59] offset0:12 offset1:13
	ds_write2_b64 v21, v[54:55], v[50:51] offset0:14 offset1:15
	ds_write_b64 v21, v[1:2] offset:128
	v_mul_hi_u32 v1, v0, s6
	s_waitcnt lgkmcnt(0)
	s_barrier
	v_mul_u32_u24_e32 v2, 0x78, v1
	v_sub_u32_e32 v0, v0, v2
	v_add_u32_e32 v2, s19, v0
	v_cmp_gt_u32_e32 vcc, s33, v2
	s_or_b64 s[4:5], s[4:5], vcc
	s_and_saveexec_b64 s[6:7], s[4:5]
	s_cbranch_execz .LBB0_17
; %bb.16:
	v_mad_u64_u32 v[4:5], s[4:5], s16, v0, 0
	s_mul_i32 s1, s1, s27
	v_mul_lo_u32 v8, v1, s18
	v_mov_b32_e32 v2, v5
	v_mad_u64_u32 v[2:3], s[4:5], s17, v0, v[2:3]
	s_mul_hi_u32 s4, s0, s27
	s_mul_i32 s0, s0, s27
	s_add_i32 s1, s4, s1
	s_lshl_b64 s[0:1], s[0:1], 3
	s_add_u32 s4, s22, s0
	v_mov_b32_e32 v5, v2
	s_addc_u32 s5, s23, s1
	s_lshl_b64 s[0:1], s[2:3], 3
	v_mul_i32_i24_e32 v0, 0x88, v0
	v_lshlrev_b32_e32 v1, 3, v1
	s_add_u32 s0, s4, s0
	v_lshlrev_b64 v[4:5], 3, v[4:5]
	v_add3_u32 v12, 0, v0, v1
	s_addc_u32 s1, s5, s1
	v_mov_b32_e32 v9, 0
	ds_read2_b64 v[0:3], v12 offset1:1
	v_mov_b32_e32 v6, s1
	v_add_co_u32_e32 v13, vcc, s0, v4
	v_addc_co_u32_e32 v14, vcc, v6, v5, vcc
	v_lshlrev_b64 v[4:5], 3, v[8:9]
	v_add_u32_e32 v8, s18, v8
	v_add_co_u32_e32 v10, vcc, v13, v4
	v_addc_co_u32_e32 v11, vcc, v14, v5, vcc
	ds_read2_b64 v[4:7], v12 offset0:2 offset1:3
	s_waitcnt lgkmcnt(1)
	global_store_dwordx2 v[10:11], v[0:1], off
	v_lshlrev_b64 v[0:1], 3, v[8:9]
	v_add_u32_e32 v8, s18, v8
	v_add_co_u32_e32 v0, vcc, v13, v0
	v_addc_co_u32_e32 v1, vcc, v14, v1, vcc
	global_store_dwordx2 v[0:1], v[2:3], off
	v_lshlrev_b64 v[0:1], 3, v[8:9]
	v_add_u32_e32 v8, s18, v8
	v_add_co_u32_e32 v0, vcc, v13, v0
	v_addc_co_u32_e32 v1, vcc, v14, v1, vcc
	s_waitcnt lgkmcnt(0)
	global_store_dwordx2 v[0:1], v[4:5], off
	v_lshlrev_b64 v[0:1], 3, v[8:9]
	v_add_u32_e32 v8, s18, v8
	v_add_co_u32_e32 v0, vcc, v13, v0
	v_addc_co_u32_e32 v1, vcc, v14, v1, vcc
	global_store_dwordx2 v[0:1], v[6:7], off
	ds_read2_b64 v[0:3], v12 offset0:4 offset1:5
	v_lshlrev_b64 v[4:5], 3, v[8:9]
	v_add_u32_e32 v8, s18, v8
	v_add_co_u32_e32 v10, vcc, v13, v4
	v_addc_co_u32_e32 v11, vcc, v14, v5, vcc
	ds_read2_b64 v[4:7], v12 offset0:6 offset1:7
	s_waitcnt lgkmcnt(1)
	global_store_dwordx2 v[10:11], v[0:1], off
	v_lshlrev_b64 v[0:1], 3, v[8:9]
	v_add_u32_e32 v8, s18, v8
	v_add_co_u32_e32 v0, vcc, v13, v0
	v_addc_co_u32_e32 v1, vcc, v14, v1, vcc
	global_store_dwordx2 v[0:1], v[2:3], off
	v_lshlrev_b64 v[0:1], 3, v[8:9]
	v_add_u32_e32 v8, s18, v8
	v_add_co_u32_e32 v0, vcc, v13, v0
	v_addc_co_u32_e32 v1, vcc, v14, v1, vcc
	s_waitcnt lgkmcnt(0)
	global_store_dwordx2 v[0:1], v[4:5], off
	v_lshlrev_b64 v[0:1], 3, v[8:9]
	v_add_u32_e32 v8, s18, v8
	v_add_co_u32_e32 v0, vcc, v13, v0
	v_addc_co_u32_e32 v1, vcc, v14, v1, vcc
	global_store_dwordx2 v[0:1], v[6:7], off
	ds_read2_b64 v[0:3], v12 offset0:8 offset1:9
	;; [unrolled: 24-line block ×3, first 2 shown]
	v_lshlrev_b64 v[4:5], 3, v[8:9]
	v_add_u32_e32 v8, s18, v8
	v_add_co_u32_e32 v10, vcc, v13, v4
	v_addc_co_u32_e32 v11, vcc, v14, v5, vcc
	ds_read2_b64 v[4:7], v12 offset0:14 offset1:15
	s_waitcnt lgkmcnt(1)
	global_store_dwordx2 v[10:11], v[0:1], off
	v_lshlrev_b64 v[0:1], 3, v[8:9]
	v_add_u32_e32 v8, s18, v8
	v_add_co_u32_e32 v0, vcc, v13, v0
	v_addc_co_u32_e32 v1, vcc, v14, v1, vcc
	global_store_dwordx2 v[0:1], v[2:3], off
	v_lshlrev_b64 v[0:1], 3, v[8:9]
	v_add_u32_e32 v8, s18, v8
	v_add_co_u32_e32 v0, vcc, v13, v0
	v_addc_co_u32_e32 v1, vcc, v14, v1, vcc
	s_waitcnt lgkmcnt(0)
	global_store_dwordx2 v[0:1], v[4:5], off
	v_lshlrev_b64 v[0:1], 3, v[8:9]
	v_add_u32_e32 v8, s18, v8
	v_add_co_u32_e32 v0, vcc, v13, v0
	v_addc_co_u32_e32 v1, vcc, v14, v1, vcc
	global_store_dwordx2 v[0:1], v[6:7], off
	ds_read_b64 v[0:1], v12 offset:128
	v_lshlrev_b64 v[2:3], 3, v[8:9]
	v_add_co_u32_e32 v2, vcc, v13, v2
	v_addc_co_u32_e32 v3, vcc, v14, v3, vcc
	s_waitcnt lgkmcnt(0)
	global_store_dwordx2 v[2:3], v[0:1], off
.LBB0_17:
	s_endpgm
	.section	.rodata,"a",@progbits
	.p2align	6, 0x0
	.amdhsa_kernel fft_rtc_fwd_len17_factors_17_wgs_120_tpt_1_sp_op_CI_CI_sbrc_unaligned
		.amdhsa_group_segment_fixed_size 0
		.amdhsa_private_segment_fixed_size 0
		.amdhsa_kernarg_size 104
		.amdhsa_user_sgpr_count 6
		.amdhsa_user_sgpr_private_segment_buffer 1
		.amdhsa_user_sgpr_dispatch_ptr 0
		.amdhsa_user_sgpr_queue_ptr 0
		.amdhsa_user_sgpr_kernarg_segment_ptr 1
		.amdhsa_user_sgpr_dispatch_id 0
		.amdhsa_user_sgpr_flat_scratch_init 0
		.amdhsa_user_sgpr_private_segment_size 0
		.amdhsa_uses_dynamic_stack 0
		.amdhsa_system_sgpr_private_segment_wavefront_offset 0
		.amdhsa_system_sgpr_workgroup_id_x 1
		.amdhsa_system_sgpr_workgroup_id_y 0
		.amdhsa_system_sgpr_workgroup_id_z 0
		.amdhsa_system_sgpr_workgroup_info 0
		.amdhsa_system_vgpr_workitem_id 0
		.amdhsa_next_free_vgpr 80
		.amdhsa_next_free_sgpr 43
		.amdhsa_reserve_vcc 1
		.amdhsa_reserve_flat_scratch 0
		.amdhsa_float_round_mode_32 0
		.amdhsa_float_round_mode_16_64 0
		.amdhsa_float_denorm_mode_32 3
		.amdhsa_float_denorm_mode_16_64 3
		.amdhsa_dx10_clamp 1
		.amdhsa_ieee_mode 1
		.amdhsa_fp16_overflow 0
		.amdhsa_exception_fp_ieee_invalid_op 0
		.amdhsa_exception_fp_denorm_src 0
		.amdhsa_exception_fp_ieee_div_zero 0
		.amdhsa_exception_fp_ieee_overflow 0
		.amdhsa_exception_fp_ieee_underflow 0
		.amdhsa_exception_fp_ieee_inexact 0
		.amdhsa_exception_int_div_zero 0
	.end_amdhsa_kernel
	.text
.Lfunc_end0:
	.size	fft_rtc_fwd_len17_factors_17_wgs_120_tpt_1_sp_op_CI_CI_sbrc_unaligned, .Lfunc_end0-fft_rtc_fwd_len17_factors_17_wgs_120_tpt_1_sp_op_CI_CI_sbrc_unaligned
                                        ; -- End function
	.section	.AMDGPU.csdata,"",@progbits
; Kernel info:
; codeLenInByte = 8888
; NumSgprs: 47
; NumVgprs: 80
; ScratchSize: 0
; MemoryBound: 0
; FloatMode: 240
; IeeeMode: 1
; LDSByteSize: 0 bytes/workgroup (compile time only)
; SGPRBlocks: 5
; VGPRBlocks: 19
; NumSGPRsForWavesPerEU: 47
; NumVGPRsForWavesPerEU: 80
; Occupancy: 3
; WaveLimiterHint : 1
; COMPUTE_PGM_RSRC2:SCRATCH_EN: 0
; COMPUTE_PGM_RSRC2:USER_SGPR: 6
; COMPUTE_PGM_RSRC2:TRAP_HANDLER: 0
; COMPUTE_PGM_RSRC2:TGID_X_EN: 1
; COMPUTE_PGM_RSRC2:TGID_Y_EN: 0
; COMPUTE_PGM_RSRC2:TGID_Z_EN: 0
; COMPUTE_PGM_RSRC2:TIDIG_COMP_CNT: 0
	.type	__hip_cuid_40d636b34f31c7b,@object ; @__hip_cuid_40d636b34f31c7b
	.section	.bss,"aw",@nobits
	.globl	__hip_cuid_40d636b34f31c7b
__hip_cuid_40d636b34f31c7b:
	.byte	0                               ; 0x0
	.size	__hip_cuid_40d636b34f31c7b, 1

	.ident	"AMD clang version 19.0.0git (https://github.com/RadeonOpenCompute/llvm-project roc-6.4.0 25133 c7fe45cf4b819c5991fe208aaa96edf142730f1d)"
	.section	".note.GNU-stack","",@progbits
	.addrsig
	.addrsig_sym __hip_cuid_40d636b34f31c7b
	.amdgpu_metadata
---
amdhsa.kernels:
  - .args:
      - .actual_access:  read_only
        .address_space:  global
        .offset:         0
        .size:           8
        .value_kind:     global_buffer
      - .offset:         8
        .size:           8
        .value_kind:     by_value
      - .actual_access:  read_only
        .address_space:  global
        .offset:         16
        .size:           8
        .value_kind:     global_buffer
      - .actual_access:  read_only
        .address_space:  global
        .offset:         24
        .size:           8
        .value_kind:     global_buffer
      - .actual_access:  read_only
        .address_space:  global
        .offset:         32
        .size:           8
        .value_kind:     global_buffer
      - .offset:         40
        .size:           8
        .value_kind:     by_value
      - .actual_access:  read_only
        .address_space:  global
        .offset:         48
        .size:           8
        .value_kind:     global_buffer
      - .actual_access:  read_only
        .address_space:  global
        .offset:         56
        .size:           8
        .value_kind:     global_buffer
      - .offset:         64
        .size:           4
        .value_kind:     by_value
      - .actual_access:  read_only
        .address_space:  global
        .offset:         72
        .size:           8
        .value_kind:     global_buffer
      - .actual_access:  read_only
        .address_space:  global
        .offset:         80
        .size:           8
        .value_kind:     global_buffer
      - .actual_access:  read_only
        .address_space:  global
        .offset:         88
        .size:           8
        .value_kind:     global_buffer
      - .actual_access:  write_only
        .address_space:  global
        .offset:         96
        .size:           8
        .value_kind:     global_buffer
    .group_segment_fixed_size: 0
    .kernarg_segment_align: 8
    .kernarg_segment_size: 104
    .language:       OpenCL C
    .language_version:
      - 2
      - 0
    .max_flat_workgroup_size: 120
    .name:           fft_rtc_fwd_len17_factors_17_wgs_120_tpt_1_sp_op_CI_CI_sbrc_unaligned
    .private_segment_fixed_size: 0
    .sgpr_count:     47
    .sgpr_spill_count: 0
    .symbol:         fft_rtc_fwd_len17_factors_17_wgs_120_tpt_1_sp_op_CI_CI_sbrc_unaligned.kd
    .uniform_work_group_size: 1
    .uses_dynamic_stack: false
    .vgpr_count:     80
    .vgpr_spill_count: 0
    .wavefront_size: 64
amdhsa.target:   amdgcn-amd-amdhsa--gfx906
amdhsa.version:
  - 1
  - 2
...

	.end_amdgpu_metadata
